;; amdgpu-corpus repo=ROCm/rocFFT kind=compiled arch=gfx1100 opt=O3
	.text
	.amdgcn_target "amdgcn-amd-amdhsa--gfx1100"
	.amdhsa_code_object_version 6
	.protected	fft_rtc_fwd_len910_factors_13_2_7_5_wgs_182_tpt_91_dp_ip_CI_unitstride_sbrr_R2C_dirReg ; -- Begin function fft_rtc_fwd_len910_factors_13_2_7_5_wgs_182_tpt_91_dp_ip_CI_unitstride_sbrr_R2C_dirReg
	.globl	fft_rtc_fwd_len910_factors_13_2_7_5_wgs_182_tpt_91_dp_ip_CI_unitstride_sbrr_R2C_dirReg
	.p2align	8
	.type	fft_rtc_fwd_len910_factors_13_2_7_5_wgs_182_tpt_91_dp_ip_CI_unitstride_sbrr_R2C_dirReg,@function
fft_rtc_fwd_len910_factors_13_2_7_5_wgs_182_tpt_91_dp_ip_CI_unitstride_sbrr_R2C_dirReg: ; @fft_rtc_fwd_len910_factors_13_2_7_5_wgs_182_tpt_91_dp_ip_CI_unitstride_sbrr_R2C_dirReg
; %bb.0:
	s_clause 0x2
	s_load_b128 s[4:7], s[0:1], 0x0
	s_load_b64 s[8:9], s[0:1], 0x50
	s_load_b64 s[10:11], s[0:1], 0x18
	v_mul_u32_u24_e32 v1, 0x2d1, v0
	v_mov_b32_e32 v3, 0
	v_mov_b32_e32 v4, 0
	s_delay_alu instid0(VALU_DEP_3) | instskip(SKIP_1) | instid1(VALU_DEP_2)
	v_lshrrev_b32_e32 v9, 16, v1
	v_mov_b32_e32 v1, 0
	v_lshl_add_u32 v5, s15, 1, v9
	s_delay_alu instid0(VALU_DEP_2) | instskip(SKIP_2) | instid1(VALU_DEP_1)
	v_mov_b32_e32 v6, v1
	s_waitcnt lgkmcnt(0)
	v_cmp_lt_u64_e64 s2, s[6:7], 2
	s_and_b32 vcc_lo, exec_lo, s2
	s_cbranch_vccnz .LBB0_8
; %bb.1:
	s_load_b64 s[2:3], s[0:1], 0x10
	v_mov_b32_e32 v3, 0
	s_add_u32 s12, s10, 8
	v_mov_b32_e32 v4, 0
	s_addc_u32 s13, s11, 0
	s_mov_b64 s[16:17], 1
	s_waitcnt lgkmcnt(0)
	s_add_u32 s14, s2, 8
	s_addc_u32 s15, s3, 0
.LBB0_2:                                ; =>This Inner Loop Header: Depth=1
	s_load_b64 s[18:19], s[14:15], 0x0
                                        ; implicit-def: $vgpr7_vgpr8
	s_mov_b32 s2, exec_lo
	s_waitcnt lgkmcnt(0)
	v_or_b32_e32 v2, s19, v6
	s_delay_alu instid0(VALU_DEP_1)
	v_cmpx_ne_u64_e32 0, v[1:2]
	s_xor_b32 s3, exec_lo, s2
	s_cbranch_execz .LBB0_4
; %bb.3:                                ;   in Loop: Header=BB0_2 Depth=1
	v_cvt_f32_u32_e32 v2, s18
	v_cvt_f32_u32_e32 v7, s19
	s_sub_u32 s2, 0, s18
	s_subb_u32 s20, 0, s19
	s_delay_alu instid0(VALU_DEP_1) | instskip(NEXT) | instid1(VALU_DEP_1)
	v_fmac_f32_e32 v2, 0x4f800000, v7
	v_rcp_f32_e32 v2, v2
	s_waitcnt_depctr 0xfff
	v_mul_f32_e32 v2, 0x5f7ffffc, v2
	s_delay_alu instid0(VALU_DEP_1) | instskip(NEXT) | instid1(VALU_DEP_1)
	v_mul_f32_e32 v7, 0x2f800000, v2
	v_trunc_f32_e32 v7, v7
	s_delay_alu instid0(VALU_DEP_1) | instskip(SKIP_1) | instid1(VALU_DEP_2)
	v_fmac_f32_e32 v2, 0xcf800000, v7
	v_cvt_u32_f32_e32 v7, v7
	v_cvt_u32_f32_e32 v2, v2
	s_delay_alu instid0(VALU_DEP_2) | instskip(NEXT) | instid1(VALU_DEP_2)
	v_mul_lo_u32 v8, s2, v7
	v_mul_hi_u32 v10, s2, v2
	v_mul_lo_u32 v11, s20, v2
	s_delay_alu instid0(VALU_DEP_2) | instskip(SKIP_1) | instid1(VALU_DEP_2)
	v_add_nc_u32_e32 v8, v10, v8
	v_mul_lo_u32 v10, s2, v2
	v_add_nc_u32_e32 v8, v8, v11
	s_delay_alu instid0(VALU_DEP_2) | instskip(NEXT) | instid1(VALU_DEP_2)
	v_mul_hi_u32 v11, v2, v10
	v_mul_lo_u32 v12, v2, v8
	v_mul_hi_u32 v13, v2, v8
	v_mul_hi_u32 v14, v7, v10
	v_mul_lo_u32 v10, v7, v10
	v_mul_hi_u32 v15, v7, v8
	v_mul_lo_u32 v8, v7, v8
	v_add_co_u32 v11, vcc_lo, v11, v12
	v_add_co_ci_u32_e32 v12, vcc_lo, 0, v13, vcc_lo
	s_delay_alu instid0(VALU_DEP_2) | instskip(NEXT) | instid1(VALU_DEP_2)
	v_add_co_u32 v10, vcc_lo, v11, v10
	v_add_co_ci_u32_e32 v10, vcc_lo, v12, v14, vcc_lo
	v_add_co_ci_u32_e32 v11, vcc_lo, 0, v15, vcc_lo
	s_delay_alu instid0(VALU_DEP_2) | instskip(NEXT) | instid1(VALU_DEP_2)
	v_add_co_u32 v8, vcc_lo, v10, v8
	v_add_co_ci_u32_e32 v10, vcc_lo, 0, v11, vcc_lo
	s_delay_alu instid0(VALU_DEP_2) | instskip(NEXT) | instid1(VALU_DEP_2)
	v_add_co_u32 v2, vcc_lo, v2, v8
	v_add_co_ci_u32_e32 v7, vcc_lo, v7, v10, vcc_lo
	s_delay_alu instid0(VALU_DEP_2) | instskip(SKIP_1) | instid1(VALU_DEP_3)
	v_mul_hi_u32 v8, s2, v2
	v_mul_lo_u32 v11, s20, v2
	v_mul_lo_u32 v10, s2, v7
	s_delay_alu instid0(VALU_DEP_1) | instskip(SKIP_1) | instid1(VALU_DEP_2)
	v_add_nc_u32_e32 v8, v8, v10
	v_mul_lo_u32 v10, s2, v2
	v_add_nc_u32_e32 v8, v8, v11
	s_delay_alu instid0(VALU_DEP_2) | instskip(NEXT) | instid1(VALU_DEP_2)
	v_mul_hi_u32 v11, v2, v10
	v_mul_lo_u32 v12, v2, v8
	v_mul_hi_u32 v13, v2, v8
	v_mul_hi_u32 v14, v7, v10
	v_mul_lo_u32 v10, v7, v10
	v_mul_hi_u32 v15, v7, v8
	v_mul_lo_u32 v8, v7, v8
	v_add_co_u32 v11, vcc_lo, v11, v12
	v_add_co_ci_u32_e32 v12, vcc_lo, 0, v13, vcc_lo
	s_delay_alu instid0(VALU_DEP_2) | instskip(NEXT) | instid1(VALU_DEP_2)
	v_add_co_u32 v10, vcc_lo, v11, v10
	v_add_co_ci_u32_e32 v10, vcc_lo, v12, v14, vcc_lo
	v_add_co_ci_u32_e32 v11, vcc_lo, 0, v15, vcc_lo
	s_delay_alu instid0(VALU_DEP_2) | instskip(NEXT) | instid1(VALU_DEP_2)
	v_add_co_u32 v8, vcc_lo, v10, v8
	v_add_co_ci_u32_e32 v10, vcc_lo, 0, v11, vcc_lo
	s_delay_alu instid0(VALU_DEP_2) | instskip(NEXT) | instid1(VALU_DEP_2)
	v_add_co_u32 v2, vcc_lo, v2, v8
	v_add_co_ci_u32_e32 v14, vcc_lo, v7, v10, vcc_lo
	s_delay_alu instid0(VALU_DEP_2) | instskip(SKIP_1) | instid1(VALU_DEP_3)
	v_mul_hi_u32 v15, v5, v2
	v_mad_u64_u32 v[10:11], null, v6, v2, 0
	v_mad_u64_u32 v[7:8], null, v5, v14, 0
	;; [unrolled: 1-line block ×3, first 2 shown]
	s_delay_alu instid0(VALU_DEP_2) | instskip(NEXT) | instid1(VALU_DEP_3)
	v_add_co_u32 v2, vcc_lo, v15, v7
	v_add_co_ci_u32_e32 v7, vcc_lo, 0, v8, vcc_lo
	s_delay_alu instid0(VALU_DEP_2) | instskip(NEXT) | instid1(VALU_DEP_2)
	v_add_co_u32 v2, vcc_lo, v2, v10
	v_add_co_ci_u32_e32 v2, vcc_lo, v7, v11, vcc_lo
	v_add_co_ci_u32_e32 v7, vcc_lo, 0, v13, vcc_lo
	s_delay_alu instid0(VALU_DEP_2) | instskip(NEXT) | instid1(VALU_DEP_2)
	v_add_co_u32 v2, vcc_lo, v2, v12
	v_add_co_ci_u32_e32 v10, vcc_lo, 0, v7, vcc_lo
	s_delay_alu instid0(VALU_DEP_2) | instskip(SKIP_1) | instid1(VALU_DEP_3)
	v_mul_lo_u32 v11, s19, v2
	v_mad_u64_u32 v[7:8], null, s18, v2, 0
	v_mul_lo_u32 v12, s18, v10
	s_delay_alu instid0(VALU_DEP_2) | instskip(NEXT) | instid1(VALU_DEP_2)
	v_sub_co_u32 v7, vcc_lo, v5, v7
	v_add3_u32 v8, v8, v12, v11
	s_delay_alu instid0(VALU_DEP_1) | instskip(NEXT) | instid1(VALU_DEP_1)
	v_sub_nc_u32_e32 v11, v6, v8
	v_subrev_co_ci_u32_e64 v11, s2, s19, v11, vcc_lo
	v_add_co_u32 v12, s2, v2, 2
	s_delay_alu instid0(VALU_DEP_1) | instskip(SKIP_3) | instid1(VALU_DEP_3)
	v_add_co_ci_u32_e64 v13, s2, 0, v10, s2
	v_sub_co_u32 v14, s2, v7, s18
	v_sub_co_ci_u32_e32 v8, vcc_lo, v6, v8, vcc_lo
	v_subrev_co_ci_u32_e64 v11, s2, 0, v11, s2
	v_cmp_le_u32_e32 vcc_lo, s18, v14
	s_delay_alu instid0(VALU_DEP_3) | instskip(SKIP_1) | instid1(VALU_DEP_4)
	v_cmp_eq_u32_e64 s2, s19, v8
	v_cndmask_b32_e64 v14, 0, -1, vcc_lo
	v_cmp_le_u32_e32 vcc_lo, s19, v11
	v_cndmask_b32_e64 v15, 0, -1, vcc_lo
	v_cmp_le_u32_e32 vcc_lo, s18, v7
	;; [unrolled: 2-line block ×3, first 2 shown]
	v_cndmask_b32_e64 v16, 0, -1, vcc_lo
	v_cmp_eq_u32_e32 vcc_lo, s19, v11
	s_delay_alu instid0(VALU_DEP_2) | instskip(SKIP_3) | instid1(VALU_DEP_3)
	v_cndmask_b32_e64 v7, v16, v7, s2
	v_cndmask_b32_e32 v11, v15, v14, vcc_lo
	v_add_co_u32 v14, vcc_lo, v2, 1
	v_add_co_ci_u32_e32 v15, vcc_lo, 0, v10, vcc_lo
	v_cmp_ne_u32_e32 vcc_lo, 0, v11
	s_delay_alu instid0(VALU_DEP_2) | instskip(SKIP_1) | instid1(VALU_DEP_2)
	v_dual_cndmask_b32 v8, v15, v13 :: v_dual_cndmask_b32 v11, v14, v12
	v_cmp_ne_u32_e32 vcc_lo, 0, v7
	v_cndmask_b32_e32 v7, v2, v11, vcc_lo
	s_delay_alu instid0(VALU_DEP_3)
	v_cndmask_b32_e32 v8, v10, v8, vcc_lo
.LBB0_4:                                ;   in Loop: Header=BB0_2 Depth=1
	s_and_not1_saveexec_b32 s2, s3
	s_cbranch_execz .LBB0_6
; %bb.5:                                ;   in Loop: Header=BB0_2 Depth=1
	v_cvt_f32_u32_e32 v2, s18
	s_sub_i32 s3, 0, s18
	s_delay_alu instid0(VALU_DEP_1) | instskip(SKIP_2) | instid1(VALU_DEP_1)
	v_rcp_iflag_f32_e32 v2, v2
	s_waitcnt_depctr 0xfff
	v_mul_f32_e32 v2, 0x4f7ffffe, v2
	v_cvt_u32_f32_e32 v2, v2
	s_delay_alu instid0(VALU_DEP_1) | instskip(NEXT) | instid1(VALU_DEP_1)
	v_mul_lo_u32 v7, s3, v2
	v_mul_hi_u32 v7, v2, v7
	s_delay_alu instid0(VALU_DEP_1) | instskip(NEXT) | instid1(VALU_DEP_1)
	v_add_nc_u32_e32 v2, v2, v7
	v_mul_hi_u32 v2, v5, v2
	s_delay_alu instid0(VALU_DEP_1) | instskip(SKIP_1) | instid1(VALU_DEP_2)
	v_mul_lo_u32 v7, v2, s18
	v_add_nc_u32_e32 v8, 1, v2
	v_sub_nc_u32_e32 v7, v5, v7
	s_delay_alu instid0(VALU_DEP_1) | instskip(SKIP_1) | instid1(VALU_DEP_2)
	v_subrev_nc_u32_e32 v10, s18, v7
	v_cmp_le_u32_e32 vcc_lo, s18, v7
	v_dual_cndmask_b32 v7, v7, v10 :: v_dual_cndmask_b32 v2, v2, v8
	s_delay_alu instid0(VALU_DEP_1) | instskip(NEXT) | instid1(VALU_DEP_2)
	v_cmp_le_u32_e32 vcc_lo, s18, v7
	v_add_nc_u32_e32 v8, 1, v2
	s_delay_alu instid0(VALU_DEP_1)
	v_dual_cndmask_b32 v7, v2, v8 :: v_dual_mov_b32 v8, v1
.LBB0_6:                                ;   in Loop: Header=BB0_2 Depth=1
	s_or_b32 exec_lo, exec_lo, s2
	s_load_b64 s[2:3], s[12:13], 0x0
	s_delay_alu instid0(VALU_DEP_1) | instskip(NEXT) | instid1(VALU_DEP_2)
	v_mul_lo_u32 v2, v8, s18
	v_mul_lo_u32 v12, v7, s19
	v_mad_u64_u32 v[10:11], null, v7, s18, 0
	s_add_u32 s16, s16, 1
	s_addc_u32 s17, s17, 0
	s_add_u32 s12, s12, 8
	s_addc_u32 s13, s13, 0
	;; [unrolled: 2-line block ×3, first 2 shown]
	s_delay_alu instid0(VALU_DEP_1) | instskip(SKIP_1) | instid1(VALU_DEP_2)
	v_add3_u32 v2, v11, v12, v2
	v_sub_co_u32 v10, vcc_lo, v5, v10
	v_sub_co_ci_u32_e32 v2, vcc_lo, v6, v2, vcc_lo
	s_waitcnt lgkmcnt(0)
	s_delay_alu instid0(VALU_DEP_2) | instskip(NEXT) | instid1(VALU_DEP_2)
	v_mul_lo_u32 v11, s3, v10
	v_mul_lo_u32 v2, s2, v2
	v_mad_u64_u32 v[5:6], null, s2, v10, v[3:4]
	v_cmp_ge_u64_e64 s2, s[16:17], s[6:7]
	s_delay_alu instid0(VALU_DEP_1) | instskip(NEXT) | instid1(VALU_DEP_2)
	s_and_b32 vcc_lo, exec_lo, s2
	v_add3_u32 v4, v11, v6, v2
	s_delay_alu instid0(VALU_DEP_3)
	v_mov_b32_e32 v3, v5
	s_cbranch_vccnz .LBB0_9
; %bb.7:                                ;   in Loop: Header=BB0_2 Depth=1
	v_dual_mov_b32 v5, v7 :: v_dual_mov_b32 v6, v8
	s_branch .LBB0_2
.LBB0_8:
	v_dual_mov_b32 v8, v6 :: v_dual_mov_b32 v7, v5
.LBB0_9:
	s_lshl_b64 s[2:3], s[6:7], 3
	v_mul_hi_u32 v5, 0x2d02d03, v0
	s_add_u32 s2, s10, s2
	s_addc_u32 s3, s11, s3
	s_load_b64 s[2:3], s[2:3], 0x0
	s_load_b64 s[0:1], s[0:1], 0x20
	s_waitcnt lgkmcnt(0)
	v_mad_u64_u32 v[1:2], null, s2, v7, v[3:4]
	v_and_b32_e32 v3, 1, v9
	v_mul_lo_u32 v6, s2, v8
	v_mul_lo_u32 v10, s3, v7
	v_mul_u32_u24_e32 v4, 0x5b, v5
	s_delay_alu instid0(VALU_DEP_4) | instskip(NEXT) | instid1(VALU_DEP_2)
	v_cmp_eq_u32_e32 vcc_lo, 1, v3
	v_sub_nc_u32_e32 v64, v0, v4
	s_delay_alu instid0(VALU_DEP_4) | instskip(SKIP_2) | instid1(VALU_DEP_4)
	v_add3_u32 v2, v10, v2, v6
	v_cndmask_b32_e64 v190, 0, 0x38f, vcc_lo
	v_cmp_gt_u64_e32 vcc_lo, s[0:1], v[7:8]
	v_lshlrev_b32_e32 v189, 4, v64
	s_delay_alu instid0(VALU_DEP_4) | instskip(NEXT) | instid1(VALU_DEP_4)
	v_lshlrev_b64 v[66:67], 4, v[1:2]
	v_lshlrev_b32_e32 v193, 4, v190
	s_and_saveexec_b32 s1, vcc_lo
	s_cbranch_execz .LBB0_11
; %bb.10:
	v_mov_b32_e32 v65, 0
	s_delay_alu instid0(VALU_DEP_3) | instskip(NEXT) | instid1(VALU_DEP_1)
	v_add_co_u32 v2, s0, s8, v66
	v_add_co_ci_u32_e64 v3, s0, s9, v67, s0
	s_delay_alu instid0(VALU_DEP_3) | instskip(SKIP_1) | instid1(VALU_DEP_2)
	v_lshlrev_b64 v[0:1], 4, v[64:65]
	v_add3_u32 v40, 0, v193, v189
	v_add_co_u32 v16, s0, v2, v0
	s_delay_alu instid0(VALU_DEP_1) | instskip(SKIP_4) | instid1(VALU_DEP_1)
	v_add_co_ci_u32_e64 v17, s0, v3, v1, s0
	s_clause 0x1
	global_load_b128 v[0:3], v[16:17], off
	global_load_b128 v[4:7], v[16:17], off offset:1456
	v_add_co_u32 v20, s0, 0x1000, v16
	v_add_co_ci_u32_e64 v21, s0, 0, v17, s0
	v_add_co_u32 v32, s0, 0x2000, v16
	s_delay_alu instid0(VALU_DEP_1) | instskip(SKIP_1) | instid1(VALU_DEP_1)
	v_add_co_ci_u32_e64 v33, s0, 0, v17, s0
	v_add_co_u32 v36, s0, 0x3000, v16
	v_add_co_ci_u32_e64 v37, s0, 0, v17, s0
	s_clause 0x7
	global_load_b128 v[8:11], v[16:17], off offset:2912
	global_load_b128 v[12:15], v[20:21], off offset:272
	;; [unrolled: 1-line block ×8, first 2 shown]
	s_waitcnt vmcnt(9)
	ds_store_b128 v40, v[0:3]
	s_waitcnt vmcnt(8)
	ds_store_b128 v40, v[4:7] offset:1456
	s_waitcnt vmcnt(7)
	ds_store_b128 v40, v[8:11] offset:2912
	;; [unrolled: 2-line block ×9, first 2 shown]
.LBB0_11:
	s_or_b32 exec_lo, exec_lo, s1
	v_add_nc_u32_e32 v191, 0, v189
	s_waitcnt lgkmcnt(0)
	s_barrier
	buffer_gl0_inv
	v_add_nc_u32_e32 v192, 0, v193
	v_add_nc_u32_e32 v65, v191, v193
	s_mov_b32 s10, 0x4267c47c
	s_mov_b32 s2, 0x42a4c3d2
	;; [unrolled: 1-line block ×3, first 2 shown]
	v_add_nc_u32_e32 v188, v192, v189
	ds_load_b128 v[12:15], v65 offset:13440
	ds_load_b128 v[36:39], v65 offset:1120
	s_mov_b32 s11, 0xbfddbe06
	s_mov_b32 s3, 0xbfea55e2
	;; [unrolled: 1-line block ×3, first 2 shown]
	ds_load_b128 v[28:31], v188
	ds_load_b128 v[16:19], v65 offset:12320
	ds_load_b128 v[44:47], v65 offset:2240
	;; [unrolled: 1-line block ×4, first 2 shown]
	s_mov_b32 s22, 0xe00740e9
	s_mov_b32 s12, 0x1ea71119
	;; [unrolled: 1-line block ×10, first 2 shown]
	ds_load_b128 v[24:27], v65 offset:10080
	ds_load_b128 v[60:63], v65 offset:4480
	s_mov_b32 s18, 0xb2365da1
	s_waitcnt lgkmcnt(7)
	v_add_f64 v[180:181], v[38:39], -v[14:15]
	v_add_f64 v[130:131], v[36:37], -v[12:13]
	v_add_f64 v[134:135], v[36:37], v[12:13]
	v_add_f64 v[184:185], v[38:39], v[14:15]
	s_mov_b32 s26, 0x93053d00
	s_waitcnt lgkmcnt(4)
	v_add_f64 v[104:105], v[46:47], -v[18:19]
	v_add_f64 v[114:115], v[44:45], -v[16:17]
	s_waitcnt lgkmcnt(2)
	v_add_f64 v[162:163], v[50:51], -v[22:23]
	v_add_f64 v[170:171], v[48:49], -v[20:21]
	v_add_f64 v[140:141], v[44:45], v[16:17]
	v_add_f64 v[164:165], v[46:47], v[18:19]
	s_mov_b32 s19, 0xbfd6b1d8
	s_mov_b32 s27, 0xbfef11f4
	;; [unrolled: 1-line block ×4, first 2 shown]
	v_add_f64 v[150:151], v[48:49], v[20:21]
	v_add_f64 v[178:179], v[50:51], v[22:23]
	ds_load_b128 v[56:59], v65 offset:5600
	ds_load_b128 v[32:35], v65 offset:8960
	s_waitcnt lgkmcnt(2)
	v_add_f64 v[136:137], v[62:63], -v[26:27]
	v_add_f64 v[90:91], v[60:61], -v[24:25]
	s_mov_b32 s36, 0x24c2f84
	s_mov_b32 s37, 0x3fe5384d
	;; [unrolled: 1-line block ×4, first 2 shown]
	v_add_f64 v[102:103], v[60:61], v[24:25]
	v_add_f64 v[160:161], v[62:63], v[26:27]
	ds_load_b128 v[52:55], v65 offset:6720
	ds_load_b128 v[40:43], v65 offset:7840
	s_mov_b32 s34, 0xd0032e0c
	s_mov_b32 s35, 0xbfe7f3cc
	s_mov_b32 s39, 0xbfe5384d
	s_mov_b32 s29, 0x3fefc445
	s_mov_b32 s38, s36
	s_mov_b32 s28, s6
	s_mov_b32 s33, exec_lo
	s_waitcnt lgkmcnt(0)
	s_barrier
	buffer_gl0_inv
	v_add_f64 v[120:121], v[58:59], -v[34:35]
	v_mul_f64 v[122:123], v[180:181], s[10:11]
	v_mul_f64 v[124:125], v[130:131], s[10:11]
	;; [unrolled: 1-line block ×18, first 2 shown]
	v_add_f64 v[70:71], v[56:57], -v[32:33]
	v_mul_f64 v[106:107], v[136:137], s[14:15]
	v_mul_f64 v[108:109], v[90:91], s[14:15]
	;; [unrolled: 1-line block ×6, first 2 shown]
	v_add_f64 v[84:85], v[56:57], v[32:33]
	v_add_f64 v[132:133], v[58:59], v[34:35]
	v_add_f64 v[126:127], v[54:55], -v[42:43]
	v_mul_f64 v[88:89], v[120:121], s[38:39]
	v_fma_f64 v[0:1], v[134:135], s[22:23], v[122:123]
	v_fma_f64 v[2:3], v[184:185], s[22:23], -v[124:125]
	v_fma_f64 v[4:5], v[134:135], s[12:13], v[154:155]
	v_fma_f64 v[6:7], v[184:185], s[12:13], -v[158:159]
	;; [unrolled: 2-line block ×9, first 2 shown]
	v_mul_f64 v[92:93], v[70:71], s[38:39]
	v_mul_f64 v[94:95], v[120:121], s[28:29]
	;; [unrolled: 1-line block ×5, first 2 shown]
	v_fma_f64 v[200:201], v[102:103], s[18:19], v[106:107]
	v_fma_f64 v[202:203], v[160:161], s[18:19], -v[108:109]
	v_fma_f64 v[204:205], v[102:103], s[34:35], v[110:111]
	v_fma_f64 v[206:207], v[160:161], s[34:35], -v[112:113]
	v_fma_f64 v[208:209], v[102:103], s[22:23], v[116:117]
	v_fma_f64 v[210:211], v[160:161], s[22:23], -v[118:119]
	v_add_f64 v[0:1], v[28:29], v[0:1]
	v_add_f64 v[2:3], v[30:31], v[2:3]
	;; [unrolled: 1-line block ×6, first 2 shown]
	v_fma_f64 v[212:213], v[132:133], s[16:17], -v[96:97]
	v_fma_f64 v[214:215], v[84:85], s[12:13], v[98:99]
	v_fma_f64 v[216:217], v[132:133], s[12:13], -v[100:101]
	v_add_f64 v[0:1], v[68:69], v[0:1]
	v_add_f64 v[2:3], v[72:73], v[2:3]
	;; [unrolled: 1-line block ×6, first 2 shown]
	v_add_f64 v[68:69], v[52:53], -v[40:41]
	v_add_f64 v[72:73], v[52:53], v[40:41]
	v_mul_f64 v[74:75], v[126:127], s[24:25]
	v_mul_f64 v[78:79], v[126:127], s[30:31]
	v_add_f64 v[0:1], v[82:83], v[0:1]
	v_add_f64 v[2:3], v[86:87], v[2:3]
	;; [unrolled: 1-line block ×7, first 2 shown]
	v_mul_f64 v[76:77], v[68:69], s[24:25]
	v_mul_f64 v[80:81], v[68:69], s[30:31]
	;; [unrolled: 1-line block ×4, first 2 shown]
	v_fma_f64 v[194:195], v[84:85], s[34:35], v[88:89]
	v_fma_f64 v[196:197], v[132:133], s[34:35], -v[92:93]
	v_fma_f64 v[198:199], v[84:85], s[16:17], v[94:95]
	v_add_f64 v[0:1], v[200:201], v[0:1]
	v_add_f64 v[2:3], v[202:203], v[2:3]
	;; [unrolled: 1-line block ×6, first 2 shown]
	v_fma_f64 v[200:201], v[72:73], s[26:27], v[74:75]
	v_fma_f64 v[202:203], v[128:129], s[26:27], -v[76:77]
	v_fma_f64 v[204:205], v[72:73], s[22:23], v[78:79]
	v_fma_f64 v[206:207], v[128:129], s[22:23], -v[80:81]
	;; [unrolled: 2-line block ×3, first 2 shown]
	v_add_f64 v[0:1], v[194:195], v[0:1]
	v_add_f64 v[2:3], v[196:197], v[2:3]
	;; [unrolled: 1-line block ×12, first 2 shown]
	v_cmpx_gt_u32_e32 0x46, v64
	s_cbranch_execz .LBB0_13
; %bb.12:
	v_add_f64 v[36:37], v[28:29], v[36:37]
	v_add_f64 v[38:39], v[30:31], v[38:39]
	v_mul_f64 v[194:195], v[134:135], s[16:17]
	v_mul_f64 v[196:197], v[184:185], s[12:13]
	;; [unrolled: 1-line block ×6, first 2 shown]
	s_mov_b32 s1, 0x3fcea1e5
	s_mov_b32 s0, s24
	v_mul_f64 v[204:205], v[178:179], s[34:35]
	v_mul_f64 v[206:207], v[164:165], s[22:23]
	;; [unrolled: 1-line block ×8, first 2 shown]
	s_mov_b32 s41, 0x3fea55e2
	s_mov_b32 s40, s2
	v_mul_f64 v[202:203], v[160:161], s[12:13]
	v_mul_f64 v[208:209], v[160:161], s[26:27]
	;; [unrolled: 1-line block ×5, first 2 shown]
	v_add_f64 v[36:37], v[36:37], v[44:45]
	v_add_f64 v[38:39], v[38:39], v[46:47]
	v_mul_f64 v[44:45], v[184:185], s[26:27]
	v_mul_f64 v[46:47], v[180:181], s[24:25]
	v_add_f64 v[174:175], v[194:195], -v[174:175]
	v_add_f64 v[158:159], v[158:159], v[196:197]
	v_mul_f64 v[196:197], v[104:105], s[28:29]
	v_add_f64 v[154:155], v[198:199], -v[154:155]
	v_add_f64 v[122:123], v[200:201], -v[122:123]
	v_add_f64 v[172:173], v[172:173], v[214:215]
	v_mul_f64 v[214:215], v[140:141], s[18:19]
	v_add_f64 v[166:167], v[226:227], -v[166:167]
	v_mul_f64 v[226:227], v[140:141], s[12:13]
	v_mul_f64 v[194:195], v[162:163], s[38:39]
	v_fma_f64 v[198:199], v[114:115], s[10:11], v[206:207]
	v_fma_f64 v[200:201], v[170:171], s[38:39], v[204:205]
	v_add_f64 v[186:187], v[186:187], v[216:217]
	v_mul_f64 v[216:217], v[162:163], s[2:3]
	v_mul_f64 v[162:163], v[162:163], s[30:31]
	v_add_f64 v[168:169], v[168:169], v[230:231]
	v_add_f64 v[182:183], v[224:225], -v[182:183]
	v_mul_f64 v[224:225], v[150:151], s[16:17]
	v_add_f64 v[112:113], v[112:113], v[228:229]
	v_add_f64 v[116:117], v[218:219], -v[116:117]
	v_add_f64 v[36:37], v[36:37], v[48:49]
	v_add_f64 v[38:39], v[38:39], v[50:51]
	v_mul_f64 v[48:49], v[184:185], s[34:35]
	v_mul_f64 v[50:51], v[180:181], s[38:39]
	v_fma_f64 v[232:233], v[130:131], s[0:1], v[44:45]
	v_fma_f64 v[234:235], v[134:135], s[26:27], v[46:47]
	;; [unrolled: 1-line block ×3, first 2 shown]
	v_fma_f64 v[46:47], v[134:135], s[26:27], -v[46:47]
	v_add_f64 v[174:175], v[28:29], v[174:175]
	v_add_f64 v[158:159], v[30:31], v[158:159]
	;; [unrolled: 1-line block ×3, first 2 shown]
	v_add_f64 v[146:147], v[214:215], -v[146:147]
	v_add_f64 v[138:139], v[226:227], -v[138:139]
	v_mul_f64 v[226:227], v[84:85], s[12:13]
	v_fma_f64 v[214:215], v[150:151], s[22:23], v[162:163]
	v_add_f64 v[144:145], v[224:225], -v[144:145]
	v_mul_f64 v[224:225], v[132:133], s[16:17]
	v_add_f64 v[36:37], v[36:37], v[60:61]
	v_add_f64 v[38:39], v[38:39], v[62:63]
	v_mul_f64 v[60:61], v[184:185], s[18:19]
	v_mul_f64 v[62:63], v[180:181], s[14:15]
	;; [unrolled: 1-line block ×4, first 2 shown]
	v_fma_f64 v[236:237], v[130:131], s[36:37], v[48:49]
	v_fma_f64 v[238:239], v[134:135], s[34:35], v[50:51]
	;; [unrolled: 1-line block ×3, first 2 shown]
	v_fma_f64 v[50:51], v[134:135], s[34:35], -v[50:51]
	v_add_f64 v[232:233], v[30:31], v[232:233]
	v_add_f64 v[234:235], v[28:29], v[234:235]
	;; [unrolled: 1-line block ×6, first 2 shown]
	v_mul_f64 v[174:175], v[128:129], s[34:35]
	v_mul_f64 v[154:155], v[126:127], s[28:29]
	v_add_f64 v[98:99], v[226:227], -v[98:99]
	v_add_f64 v[96:97], v[96:97], v[224:225]
	v_add_f64 v[36:37], v[36:37], v[56:57]
	;; [unrolled: 1-line block ×3, first 2 shown]
	v_mul_f64 v[58:59], v[178:179], s[22:23]
	v_fma_f64 v[240:241], v[130:131], s[20:21], v[60:61]
	v_fma_f64 v[60:61], v[130:131], s[14:15], v[60:61]
	;; [unrolled: 1-line block ×3, first 2 shown]
	v_fma_f64 v[62:63], v[134:135], s[18:19], -v[62:63]
	v_mul_f64 v[134:135], v[104:105], s[30:31]
	v_add_f64 v[176:177], v[176:177], v[180:181]
	v_mul_f64 v[180:181], v[164:165], s[18:19]
	v_mul_f64 v[104:105], v[104:105], s[36:37]
	v_add_f64 v[124:125], v[124:125], v[184:185]
	v_mul_f64 v[164:165], v[164:165], s[12:13]
	v_fma_f64 v[184:185], v[170:171], s[36:37], v[204:205]
	v_fma_f64 v[204:205], v[114:115], s[30:31], v[206:207]
	;; [unrolled: 1-line block ×3, first 2 shown]
	v_mul_f64 v[178:179], v[178:179], s[16:17]
	v_add_f64 v[236:237], v[30:31], v[236:237]
	v_add_f64 v[238:239], v[28:29], v[238:239]
	;; [unrolled: 1-line block ×4, first 2 shown]
	v_mul_f64 v[56:57], v[160:161], s[22:23]
	v_mul_f64 v[160:161], v[160:161], s[18:19]
	v_add_f64 v[198:199], v[198:199], v[232:233]
	v_mul_f64 v[232:233], v[132:133], s[12:13]
	v_add_f64 v[86:87], v[86:87], v[174:175]
	v_add_f64 v[36:37], v[36:37], v[52:53]
	;; [unrolled: 1-line block ×3, first 2 shown]
	v_fma_f64 v[52:53], v[114:115], s[6:7], v[212:213]
	v_fma_f64 v[54:55], v[170:171], s[2:3], v[210:211]
	;; [unrolled: 1-line block ×7, first 2 shown]
	v_mul_f64 v[222:223], v[150:151], s[26:27]
	v_fma_f64 v[230:231], v[140:141], s[22:23], v[134:135]
	v_fma_f64 v[134:135], v[140:141], s[22:23], -v[134:135]
	v_add_f64 v[240:241], v[30:31], v[240:241]
	v_add_f64 v[130:131], v[28:29], v[130:131]
	;; [unrolled: 1-line block ×6, first 2 shown]
	v_fma_f64 v[122:123], v[140:141], s[16:17], v[196:197]
	v_add_f64 v[148:149], v[148:149], v[180:181]
	v_fma_f64 v[196:197], v[140:141], s[16:17], -v[196:197]
	v_add_f64 v[30:31], v[30:31], v[124:125]
	v_add_f64 v[142:143], v[142:143], v[164:165]
	v_mul_f64 v[124:125], v[102:103], s[34:35]
	v_fma_f64 v[180:181], v[150:151], s[34:35], v[194:195]
	v_fma_f64 v[194:195], v[150:151], s[34:35], -v[194:195]
	v_add_f64 v[152:153], v[152:153], v[178:179]
	v_mul_f64 v[178:179], v[102:103], s[18:19]
	v_add_f64 v[44:45], v[204:205], v[44:45]
	v_add_f64 v[56:57], v[118:119], v[56:57]
	;; [unrolled: 1-line block ×3, first 2 shown]
	v_mul_f64 v[164:165], v[84:85], s[34:35]
	v_add_f64 v[100:101], v[100:101], v[232:233]
	v_mul_f64 v[204:205], v[128:129], s[26:27]
	v_add_f64 v[36:37], v[36:37], v[40:41]
	v_fma_f64 v[40:41], v[140:141], s[34:35], -v[104:105]
	v_fma_f64 v[104:105], v[140:141], s[34:35], v[104:105]
	v_add_f64 v[38:39], v[38:39], v[42:43]
	v_add_f64 v[52:53], v[52:53], v[236:237]
	;; [unrolled: 1-line block ×3, first 2 shown]
	v_mul_f64 v[42:43], v[132:133], s[34:35]
	v_mul_f64 v[140:141], v[84:85], s[16:17]
	;; [unrolled: 1-line block ×3, first 2 shown]
	v_add_f64 v[156:157], v[222:223], -v[156:157]
	v_fma_f64 v[222:223], v[150:151], s[12:13], v[216:217]
	v_fma_f64 v[216:217], v[150:151], s[12:13], -v[216:217]
	v_fma_f64 v[150:151], v[150:151], s[22:23], -v[162:163]
	v_mul_f64 v[162:163], v[136:137], s[6:7]
	v_add_f64 v[46:47], v[134:135], v[46:47]
	v_add_f64 v[170:171], v[170:171], v[240:241]
	v_mul_f64 v[240:241], v[136:137], s[40:41]
	v_mul_f64 v[136:137], v[136:137], s[0:1]
	v_add_f64 v[122:123], v[122:123], v[238:239]
	v_add_f64 v[60:61], v[114:115], v[60:61]
	;; [unrolled: 1-line block ×8, first 2 shown]
	v_mul_f64 v[238:239], v[120:121], s[14:15]
	v_mul_f64 v[210:211], v[132:133], s[22:23]
	v_mul_f64 v[196:197], v[120:121], s[30:31]
	v_mul_f64 v[132:133], v[132:133], s[26:27]
	v_fma_f64 v[138:139], v[90:91], s[24:25], v[208:209]
	v_fma_f64 v[142:143], v[90:91], s[0:1], v[208:209]
	v_add_f64 v[110:111], v[124:125], -v[110:111]
	v_add_f64 v[106:107], v[178:179], -v[106:107]
	v_add_f64 v[44:45], v[200:201], v[44:45]
	v_mul_f64 v[120:121], v[120:121], s[0:1]
	v_mul_f64 v[134:135], v[72:73], s[22:23]
	;; [unrolled: 1-line block ×3, first 2 shown]
	v_add_f64 v[32:33], v[36:37], v[32:33]
	v_add_f64 v[40:41], v[40:41], v[62:63]
	;; [unrolled: 1-line block ×4, first 2 shown]
	v_fma_f64 v[36:37], v[90:91], s[2:3], v[202:203]
	v_fma_f64 v[38:39], v[90:91], s[40:41], v[202:203]
	;; [unrolled: 1-line block ×4, first 2 shown]
	v_add_f64 v[52:53], v[206:207], v[52:53]
	v_add_f64 v[48:49], v[54:55], v[48:49]
	;; [unrolled: 1-line block ×3, first 2 shown]
	v_add_f64 v[94:95], v[140:141], -v[94:95]
	v_mul_f64 v[176:177], v[72:73], s[34:35]
	v_fma_f64 v[118:119], v[102:103], s[16:17], v[162:163]
	v_fma_f64 v[124:125], v[102:103], s[16:17], -v[162:163]
	v_add_f64 v[46:47], v[194:195], v[46:47]
	v_fma_f64 v[160:161], v[102:103], s[12:13], v[240:241]
	v_fma_f64 v[162:163], v[102:103], s[12:13], -v[240:241]
	v_fma_f64 v[178:179], v[102:103], s[26:27], v[136:137]
	v_fma_f64 v[102:103], v[102:103], s[26:27], -v[136:137]
	v_add_f64 v[136:137], v[184:185], v[198:199]
	v_add_f64 v[122:123], v[222:223], v[122:123]
	;; [unrolled: 1-line block ×10, first 2 shown]
	v_fma_f64 v[144:145], v[70:71], s[14:15], v[236:237]
	v_fma_f64 v[152:153], v[84:85], s[18:19], -v[238:239]
	v_fma_f64 v[156:157], v[70:71], s[10:11], v[210:211]
	v_fma_f64 v[166:167], v[84:85], s[22:23], v[196:197]
	;; [unrolled: 1-line block ×4, first 2 shown]
	v_mul_f64 v[158:159], v[128:129], s[16:17]
	v_mul_f64 v[62:63], v[128:129], s[18:19]
	v_add_f64 v[24:25], v[32:33], v[24:25]
	v_add_f64 v[40:41], v[150:151], v[40:41]
	;; [unrolled: 1-line block ×5, first 2 shown]
	v_fma_f64 v[32:33], v[70:71], s[20:21], v[236:237]
	v_fma_f64 v[70:71], v[70:71], s[0:1], v[132:133]
	v_add_f64 v[38:39], v[38:39], v[44:45]
	v_mul_f64 v[130:131], v[126:127], s[14:15]
	v_mul_f64 v[128:129], v[128:129], s[12:13]
	;; [unrolled: 1-line block ×3, first 2 shown]
	v_fma_f64 v[34:35], v[84:85], s[18:19], v[238:239]
	v_fma_f64 v[170:171], v[84:85], s[22:23], -v[196:197]
	v_add_f64 v[42:43], v[92:93], v[42:43]
	v_fma_f64 v[92:93], v[84:85], s[26:27], v[120:121]
	v_fma_f64 v[84:85], v[84:85], s[26:27], -v[120:121]
	v_add_f64 v[48:49], v[142:143], v[48:49]
	v_add_f64 v[44:45], v[162:163], v[46:47]
	;; [unrolled: 1-line block ×3, first 2 shown]
	v_mul_f64 v[234:235], v[72:73], s[26:27]
	v_add_f64 v[36:37], v[36:37], v[136:137]
	v_add_f64 v[52:53], v[178:179], v[122:123]
	;; [unrolled: 1-line block ×9, first 2 shown]
	v_add_f64 v[88:89], v[164:165], -v[88:89]
	v_add_f64 v[30:31], v[108:109], v[30:31]
	v_add_f64 v[80:81], v[80:81], v[114:115]
	v_add_f64 v[78:79], v[134:135], -v[78:79]
	v_fma_f64 v[108:109], v[72:73], s[16:17], -v[154:155]
	v_add_f64 v[82:83], v[176:177], -v[82:83]
	v_add_f64 v[76:77], v[76:77], v[204:205]
	v_fma_f64 v[110:111], v[68:69], s[20:21], v[62:63]
	v_add_f64 v[20:21], v[24:25], v[20:21]
	v_add_f64 v[40:41], v[124:125], v[40:41]
	;; [unrolled: 1-line block ×6, first 2 shown]
	v_fma_f64 v[106:107], v[68:69], s[28:29], v[158:159]
	v_fma_f64 v[26:27], v[68:69], s[6:7], v[158:159]
	;; [unrolled: 1-line block ×5, first 2 shown]
	v_fma_f64 v[116:117], v[72:73], s[18:19], -v[130:131]
	v_fma_f64 v[118:119], v[68:69], s[2:3], v[128:129]
	v_fma_f64 v[68:69], v[68:69], s[40:41], v[128:129]
	;; [unrolled: 1-line block ×3, first 2 shown]
	v_fma_f64 v[72:73], v[72:73], s[12:13], -v[126:127]
	v_add_f64 v[48:49], v[168:169], v[48:49]
	v_add_f64 v[74:75], v[234:235], -v[74:75]
	v_add_f64 v[32:33], v[32:33], v[36:37]
	v_add_f64 v[36:37], v[144:145], v[38:39]
	;; [unrolled: 1-line block ×32, first 2 shown]
	v_mul_u32_u24_e32 v52, 0xc0, v64
	s_delay_alu instid0(VALU_DEP_1)
	v_add3_u32 v52, v191, v52, v193
	v_add_f64 v[32:33], v[72:73], v[70:71]
	v_add_f64 v[46:47], v[118:119], v[84:85]
	;; [unrolled: 1-line block ×7, first 2 shown]
	ds_store_b128 v52, v[0:3] offset:160
	ds_store_b128 v52, v[4:7] offset:176
	;; [unrolled: 1-line block ×10, first 2 shown]
	ds_store_b128 v52, v[12:15]
	ds_store_b128 v52, v[48:51] offset:16
	ds_store_b128 v52, v[8:11] offset:192
.LBB0_13:
	s_or_b32 exec_lo, exec_lo, s33
	v_add_nc_u32_e32 v56, 0x5b, v64
	v_add_nc_u32_e32 v12, 0xb6, v64
	v_and_b32_e32 v13, 0xff, v64
	v_add_nc_u32_e32 v14, 0x111, v64
	v_add_nc_u32_e32 v16, 0x16c, v64
	v_and_b32_e32 v15, 0xff, v56
	v_and_b32_e32 v17, 0xffff, v12
	v_mul_lo_u16 v58, 0x4f, v13
	v_and_b32_e32 v13, 0xffff, v14
	s_waitcnt lgkmcnt(0)
	v_mul_lo_u16 v57, 0x4f, v15
	v_and_b32_e32 v15, 0xffff, v16
	v_mul_u32_u24_e32 v17, 0x4ec5, v17
	v_lshrrev_b16 v63, 10, v58
	v_mul_u32_u24_e32 v13, 0x4ec5, v13
	v_lshrrev_b16 v74, 10, v57
	v_mul_u32_u24_e32 v15, 0x4ec5, v15
	v_lshrrev_b32_e32 v75, 18, v17
	v_mul_lo_u16 v17, v63, 13
	v_lshrrev_b32_e32 v76, 18, v13
	v_mul_lo_u16 v13, v74, 13
	;; [unrolled: 2-line block ×3, first 2 shown]
	v_sub_nc_u16 v17, v64, v17
	v_mul_lo_u16 v18, v76, 13
	v_sub_nc_u16 v13, v56, v13
	v_mul_lo_u16 v19, v77, 13
	v_sub_nc_u16 v12, v12, v15
	v_and_b32_e32 v15, 0xff, v17
	v_sub_nc_u16 v14, v14, v18
	v_and_b32_e32 v13, 0xff, v13
	v_sub_nc_u16 v16, v16, v19
	v_and_b32_e32 v12, 0xffff, v12
	v_lshlrev_b32_e32 v78, 4, v15
	v_and_b32_e32 v17, 0xffff, v14
	v_lshlrev_b32_e32 v79, 4, v13
	v_and_b32_e32 v20, 0xffff, v16
	s_barrier
	buffer_gl0_inv
	v_lshlrev_b32_e32 v80, 4, v12
	global_load_b128 v[12:15], v78, s[4:5]
	v_lshlrev_b32_e32 v81, 4, v17
	global_load_b128 v[16:19], v79, s[4:5]
	v_lshlrev_b32_e32 v82, 4, v20
	s_clause 0x2
	global_load_b128 v[20:23], v80, s[4:5]
	global_load_b128 v[24:27], v81, s[4:5]
	;; [unrolled: 1-line block ×3, first 2 shown]
	ds_load_b128 v[32:35], v65 offset:7280
	ds_load_b128 v[36:39], v65 offset:8736
	;; [unrolled: 1-line block ×6, first 2 shown]
	v_cmp_gt_u32_e64 s0, 39, v64
	s_waitcnt vmcnt(4) lgkmcnt(5)
	v_mul_f64 v[59:60], v[34:35], v[14:15]
	v_mul_f64 v[14:15], v[32:33], v[14:15]
	s_waitcnt vmcnt(3) lgkmcnt(4)
	v_mul_f64 v[61:62], v[38:39], v[18:19]
	v_mul_f64 v[18:19], v[36:37], v[18:19]
	;; [unrolled: 3-line block ×5, first 2 shown]
	v_fma_f64 v[59:60], v[32:33], v[12:13], -v[59:60]
	v_fma_f64 v[12:13], v[34:35], v[12:13], v[14:15]
	v_fma_f64 v[14:15], v[36:37], v[16:17], -v[61:62]
	v_fma_f64 v[16:17], v[38:39], v[16:17], v[18:19]
	;; [unrolled: 2-line block ×5, first 2 shown]
	ds_load_b128 v[20:23], v188
	ds_load_b128 v[24:27], v65 offset:1456
	ds_load_b128 v[28:31], v65 offset:2912
	;; [unrolled: 1-line block ×3, first 2 shown]
	s_waitcnt lgkmcnt(0)
	s_barrier
	buffer_gl0_inv
	v_add_f64 v[36:37], v[20:21], -v[59:60]
	v_add_f64 v[38:39], v[22:23], -v[12:13]
	v_add_f64 v[40:41], v[24:25], -v[14:15]
	v_add_f64 v[42:43], v[26:27], -v[16:17]
	v_add_f64 v[44:45], v[28:29], -v[18:19]
	v_add_f64 v[46:47], v[30:31], -v[61:62]
	v_add_f64 v[12:13], v[32:33], -v[68:69]
	v_add_f64 v[14:15], v[34:35], -v[70:71]
	v_add_f64 v[16:17], v[52:53], -v[48:49]
	v_add_f64 v[18:19], v[54:55], -v[50:51]
	v_mad_u32_u24 v59, 0x1a0, v77, 0
	s_delay_alu instid0(VALU_DEP_1)
	v_add3_u32 v59, v59, v82, v193
	v_fma_f64 v[48:49], v[20:21], 2.0, -v[36:37]
	v_fma_f64 v[50:51], v[22:23], 2.0, -v[38:39]
	;; [unrolled: 1-line block ×10, first 2 shown]
	v_and_b32_e32 v52, 0xffff, v63
	v_and_b32_e32 v53, 0xffff, v74
	v_mad_u32_u24 v54, 0x1a0, v75, 0
	v_mad_u32_u24 v55, 0x1a0, v76, 0
	s_delay_alu instid0(VALU_DEP_4) | instskip(NEXT) | instid1(VALU_DEP_4)
	v_mad_u32_u24 v52, 0x1a0, v52, 0
	v_mad_u32_u24 v53, 0x1a0, v53, 0
	s_delay_alu instid0(VALU_DEP_4) | instskip(NEXT) | instid1(VALU_DEP_4)
	v_add3_u32 v54, v54, v80, v193
	v_add3_u32 v55, v55, v81, v193
	s_delay_alu instid0(VALU_DEP_4) | instskip(NEXT) | instid1(VALU_DEP_4)
	v_add3_u32 v52, v52, v78, v193
	v_add3_u32 v53, v53, v79, v193
	ds_store_b128 v52, v[48:51]
	ds_store_b128 v52, v[36:39] offset:208
	ds_store_b128 v53, v[24:27]
	ds_store_b128 v53, v[40:43] offset:208
	;; [unrolled: 2-line block ×5, first 2 shown]
	s_waitcnt lgkmcnt(0)
	s_barrier
	buffer_gl0_inv
	ds_load_b128 v[28:31], v188
	ds_load_b128 v[48:51], v65 offset:2080
	ds_load_b128 v[44:47], v65 offset:4160
	;; [unrolled: 1-line block ×6, first 2 shown]
                                        ; implicit-def: $vgpr26_vgpr27
	s_and_saveexec_b32 s1, s0
	s_cbranch_execz .LBB0_15
; %bb.14:
	ds_load_b128 v[12:15], v65 offset:1456
	ds_load_b128 v[20:23], v65 offset:3536
	;; [unrolled: 1-line block ×7, first 2 shown]
.LBB0_15:
	s_or_b32 exec_lo, exec_lo, s1
	v_lshrrev_b16 v98, 11, v58
	s_mov_b32 s6, 0x37e14327
	s_mov_b32 s10, 0xe976ee23
	;; [unrolled: 1-line block ×4, first 2 shown]
	v_mul_lo_u16 v58, v98, 26
	s_mov_b32 s2, 0x429ad128
	s_mov_b32 s3, 0x3febfeb5
	;; [unrolled: 1-line block ×4, first 2 shown]
	v_sub_nc_u16 v58, v64, v58
	s_mov_b32 s12, 0xaaaaaaaa
	s_mov_b32 s20, 0xb247c609
	;; [unrolled: 1-line block ×4, first 2 shown]
	v_and_b32_e32 v99, 0xff, v58
	s_mov_b32 s21, 0x3fd5d0dc
	s_mov_b32 s15, 0x3fe77f67
	;; [unrolled: 1-line block ×4, first 2 shown]
	v_mul_u32_u24_e32 v58, 6, v99
	s_mov_b32 s18, s14
	s_mov_b32 s22, s20
	s_mov_b32 s24, 0x37c3f68c
	s_mov_b32 s25, 0x3fdc38aa
	v_lshlrev_b32_e32 v62, 4, v58
	s_clause 0x5
	global_load_b128 v[58:61], v62, s[4:5] offset:208
	global_load_b128 v[68:71], v62, s[4:5] offset:224
	;; [unrolled: 1-line block ×6, first 2 shown]
	s_waitcnt vmcnt(0) lgkmcnt(0)
	s_barrier
	buffer_gl0_inv
	v_mul_f64 v[62:63], v[50:51], v[60:61]
	v_mul_f64 v[60:61], v[48:49], v[60:61]
	;; [unrolled: 1-line block ×12, first 2 shown]
	v_fma_f64 v[48:49], v[48:49], v[58:59], -v[62:63]
	v_fma_f64 v[50:51], v[50:51], v[58:59], v[60:61]
	v_fma_f64 v[44:45], v[44:45], v[68:69], -v[88:89]
	v_fma_f64 v[46:47], v[46:47], v[68:69], v[70:71]
	;; [unrolled: 2-line block ×6, first 2 shown]
	v_add_f64 v[58:59], v[48:49], v[52:53]
	v_add_f64 v[60:61], v[50:51], v[54:55]
	v_add_f64 v[62:63], v[44:45], v[40:41]
	v_add_f64 v[68:69], v[46:47], v[42:43]
	v_add_f64 v[40:41], v[44:45], -v[40:41]
	v_add_f64 v[42:43], v[46:47], -v[42:43]
	v_add_f64 v[44:45], v[36:37], v[32:33]
	v_add_f64 v[46:47], v[38:39], v[34:35]
	v_add_f64 v[32:33], v[32:33], -v[36:37]
	v_add_f64 v[34:35], v[34:35], -v[38:39]
	;; [unrolled: 1-line block ×4, first 2 shown]
	v_add_f64 v[48:49], v[62:63], v[58:59]
	v_add_f64 v[50:51], v[68:69], v[60:61]
	v_add_f64 v[52:53], v[58:59], -v[44:45]
	v_add_f64 v[54:55], v[60:61], -v[46:47]
	;; [unrolled: 1-line block ×6, first 2 shown]
	v_add_f64 v[40:41], v[32:33], v[40:41]
	v_add_f64 v[42:43], v[34:35], v[42:43]
	v_add_f64 v[32:33], v[36:37], -v[32:33]
	v_add_f64 v[34:35], v[38:39], -v[34:35]
	;; [unrolled: 1-line block ×4, first 2 shown]
	v_add_f64 v[48:49], v[44:45], v[48:49]
	v_add_f64 v[50:51], v[46:47], v[50:51]
	v_add_f64 v[44:45], v[44:45], -v[62:63]
	v_add_f64 v[46:47], v[46:47], -v[68:69]
	v_mul_f64 v[52:53], v[52:53], s[6:7]
	v_mul_f64 v[54:55], v[54:55], s[6:7]
	v_mul_f64 v[70:71], v[70:71], s[10:11]
	v_mul_f64 v[72:73], v[72:73], s[10:11]
	v_mul_f64 v[78:79], v[74:75], s[2:3]
	v_mul_f64 v[80:81], v[76:77], s[2:3]
	v_add_f64 v[36:37], v[40:41], v[36:37]
	v_add_f64 v[38:39], v[42:43], v[38:39]
	v_add_f64 v[28:29], v[28:29], v[48:49]
	v_add_f64 v[30:31], v[30:31], v[50:51]
	v_mul_f64 v[62:63], v[44:45], s[16:17]
	v_mul_f64 v[68:69], v[46:47], s[16:17]
	v_fma_f64 v[40:41], v[44:45], s[16:17], v[52:53]
	v_fma_f64 v[42:43], v[46:47], s[16:17], v[54:55]
	;; [unrolled: 1-line block ×4, first 2 shown]
	v_fma_f64 v[70:71], v[74:75], s[2:3], -v[70:71]
	v_fma_f64 v[72:73], v[76:77], s[2:3], -v[72:73]
	;; [unrolled: 1-line block ×6, first 2 shown]
	v_fma_f64 v[48:49], v[48:49], s[12:13], v[28:29]
	v_fma_f64 v[50:51], v[50:51], s[12:13], v[30:31]
	v_fma_f64 v[58:59], v[58:59], s[14:15], -v[62:63]
	v_fma_f64 v[60:61], v[60:61], s[14:15], -v[68:69]
	v_fma_f64 v[62:63], v[36:37], s[24:25], v[44:45]
	v_fma_f64 v[68:69], v[38:39], s[24:25], v[46:47]
	;; [unrolled: 1-line block ×6, first 2 shown]
	v_add_f64 v[74:75], v[40:41], v[48:49]
	v_add_f64 v[76:77], v[42:43], v[50:51]
	;; [unrolled: 1-line block ×6, first 2 shown]
	v_and_b32_e32 v58, 0xffff, v98
	v_lshlrev_b32_e32 v59, 4, v99
	s_delay_alu instid0(VALU_DEP_2) | instskip(NEXT) | instid1(VALU_DEP_1)
	v_mad_u32_u24 v58, 0xb60, v58, 0
	v_add3_u32 v58, v58, v59, v193
	v_add_f64 v[32:33], v[68:69], v[74:75]
	v_add_f64 v[34:35], v[76:77], -v[62:63]
	v_add_f64 v[36:37], v[72:73], v[52:53]
	v_add_f64 v[38:39], v[54:55], -v[70:71]
	v_add_f64 v[40:41], v[48:49], -v[44:45]
	v_add_f64 v[42:43], v[46:47], v[50:51]
	v_add_f64 v[44:45], v[44:45], v[48:49]
	v_add_f64 v[46:47], v[50:51], -v[46:47]
	v_add_f64 v[48:49], v[52:53], -v[72:73]
	v_add_f64 v[50:51], v[70:71], v[54:55]
	v_add_f64 v[52:53], v[74:75], -v[68:69]
	v_add_f64 v[54:55], v[62:63], v[76:77]
	ds_store_b128 v58, v[28:31]
	ds_store_b128 v58, v[32:35] offset:416
	ds_store_b128 v58, v[36:39] offset:832
	;; [unrolled: 1-line block ×6, first 2 shown]
	s_and_saveexec_b32 s1, s0
	s_cbranch_execz .LBB0_17
; %bb.16:
	v_lshrrev_b16 v63, 11, v57
	s_delay_alu instid0(VALU_DEP_1) | instskip(NEXT) | instid1(VALU_DEP_1)
	v_mul_lo_u16 v28, v63, 26
	v_sub_nc_u16 v28, v56, v28
	s_delay_alu instid0(VALU_DEP_1) | instskip(NEXT) | instid1(VALU_DEP_1)
	v_and_b32_e32 v70, 0xff, v28
	v_mul_u32_u24_e32 v28, 6, v70
	s_delay_alu instid0(VALU_DEP_1)
	v_lshlrev_b32_e32 v48, 4, v28
	s_clause 0x5
	global_load_b128 v[28:31], v48, s[4:5] offset:224
	global_load_b128 v[32:35], v48, s[4:5] offset:272
	;; [unrolled: 1-line block ×6, first 2 shown]
	s_waitcnt vmcnt(5)
	v_mul_f64 v[52:53], v[16:17], v[30:31]
	s_waitcnt vmcnt(4)
	v_mul_f64 v[54:55], v[8:9], v[34:35]
	;; [unrolled: 2-line block ×4, first 2 shown]
	v_mul_f64 v[30:31], v[18:19], v[30:31]
	v_mul_f64 v[34:35], v[10:11], v[34:35]
	;; [unrolled: 1-line block ×4, first 2 shown]
	s_waitcnt vmcnt(1)
	v_mul_f64 v[61:62], v[6:7], v[46:47]
	s_waitcnt vmcnt(0)
	v_mul_f64 v[68:69], v[2:3], v[50:51]
	v_mul_f64 v[50:51], v[0:1], v[50:51]
	v_mul_f64 v[46:47], v[4:5], v[46:47]
	v_fma_f64 v[18:19], v[18:19], v[28:29], v[52:53]
	v_fma_f64 v[10:11], v[10:11], v[32:33], v[54:55]
	;; [unrolled: 1-line block ×4, first 2 shown]
	v_fma_f64 v[16:17], v[16:17], v[28:29], -v[30:31]
	v_fma_f64 v[8:9], v[8:9], v[32:33], -v[34:35]
	;; [unrolled: 1-line block ×6, first 2 shown]
	v_fma_f64 v[2:3], v[2:3], v[48:49], v[50:51]
	v_fma_f64 v[6:7], v[6:7], v[44:45], v[46:47]
	v_add_f64 v[28:29], v[18:19], v[10:11]
	v_add_f64 v[30:31], v[22:23], v[26:27]
	;; [unrolled: 1-line block ×3, first 2 shown]
	v_add_f64 v[8:9], v[16:17], -v[8:9]
	v_add_f64 v[34:35], v[20:21], v[24:25]
	v_add_f64 v[36:37], v[4:5], -v[0:1]
	v_add_f64 v[0:1], v[0:1], v[4:5]
	v_add_f64 v[16:17], v[2:3], v[6:7]
	v_add_f64 v[4:5], v[20:21], -v[24:25]
	v_add_f64 v[2:3], v[6:7], -v[2:3]
	;; [unrolled: 1-line block ×4, first 2 shown]
	v_add_f64 v[20:21], v[28:29], v[30:31]
	v_add_f64 v[18:19], v[32:33], v[34:35]
	v_add_f64 v[22:23], v[36:37], -v[8:9]
	v_add_f64 v[26:27], v[34:35], -v[0:1]
	;; [unrolled: 1-line block ×7, first 2 shown]
	v_add_f64 v[8:9], v[36:37], v[8:9]
	v_add_f64 v[36:37], v[4:5], -v[36:37]
	v_add_f64 v[6:7], v[2:3], v[6:7]
	v_add_f64 v[48:49], v[10:11], -v[2:3]
	;; [unrolled: 2-line block ×3, first 2 shown]
	v_add_f64 v[18:19], v[0:1], v[18:19]
	v_mul_f64 v[22:23], v[22:23], s[10:11]
	v_mul_f64 v[26:27], v[26:27], s[6:7]
	;; [unrolled: 1-line block ×4, first 2 shown]
	v_add_f64 v[4:5], v[8:9], v[4:5]
	v_add_f64 v[6:7], v[6:7], v[10:11]
	;; [unrolled: 1-line block ×3, first 2 shown]
	v_add_f64 v[14:15], v[28:29], -v[30:31]
	v_mul_f64 v[28:29], v[16:17], s[16:17]
	v_mul_f64 v[30:31], v[40:41], s[10:11]
	v_add_f64 v[0:1], v[12:13], v[18:19]
	v_mul_f64 v[40:41], v[42:43], s[2:3]
	v_add_f64 v[12:13], v[32:33], -v[34:35]
	v_mul_f64 v[32:33], v[44:45], s[16:17]
	v_fma_f64 v[8:9], v[36:37], s[20:21], v[22:23]
	v_fma_f64 v[10:11], v[16:17], s[16:17], v[24:25]
	;; [unrolled: 1-line block ×3, first 2 shown]
	v_fma_f64 v[34:35], v[36:37], s[22:23], -v[46:47]
	v_fma_f64 v[22:23], v[38:39], s[2:3], -v[22:23]
	v_fma_f64 v[20:21], v[20:21], s[12:13], v[2:3]
	v_fma_f64 v[24:25], v[14:15], s[18:19], -v[24:25]
	v_fma_f64 v[14:15], v[14:15], s[14:15], -v[28:29]
	v_fma_f64 v[28:29], v[48:49], s[20:21], v[30:31]
	v_fma_f64 v[18:19], v[18:19], s[12:13], v[0:1]
	v_fma_f64 v[36:37], v[48:49], s[22:23], -v[40:41]
	v_fma_f64 v[26:27], v[12:13], s[18:19], -v[26:27]
	;; [unrolled: 1-line block ×4, first 2 shown]
	v_fma_f64 v[8:9], v[4:5], s[24:25], v[8:9]
	v_fma_f64 v[32:33], v[4:5], s[24:25], v[34:35]
	;; [unrolled: 1-line block ×3, first 2 shown]
	v_add_f64 v[34:35], v[10:11], v[20:21]
	v_add_f64 v[22:23], v[24:25], v[20:21]
	;; [unrolled: 1-line block ×3, first 2 shown]
	v_fma_f64 v[28:29], v[6:7], s[24:25], v[28:29]
	v_add_f64 v[38:39], v[16:17], v[18:19]
	v_fma_f64 v[36:37], v[6:7], s[24:25], v[36:37]
	v_add_f64 v[40:41], v[26:27], v[18:19]
	;; [unrolled: 2-line block ×3, first 2 shown]
	v_add_f64 v[26:27], v[34:35], -v[8:9]
	v_add_f64 v[10:11], v[32:33], v[22:23]
	v_add_f64 v[14:15], v[20:21], -v[4:5]
	v_add_f64 v[18:19], v[4:5], v[20:21]
	v_add_f64 v[24:25], v[28:29], v[38:39]
	v_add_f64 v[22:23], v[22:23], -v[32:33]
	v_add_f64 v[20:21], v[36:37], v[40:41]
	;; [unrolled: 3-line block ×3, first 2 shown]
	v_add_f64 v[8:9], v[40:41], -v[36:37]
	v_add_f64 v[4:5], v[38:39], -v[28:29]
	v_and_b32_e32 v28, 0xffff, v63
	v_lshlrev_b32_e32 v29, 4, v70
	s_delay_alu instid0(VALU_DEP_2) | instskip(NEXT) | instid1(VALU_DEP_1)
	v_mad_u32_u24 v28, 0xb60, v28, 0
	v_add3_u32 v28, v28, v29, v193
	ds_store_b128 v28, v[0:3]
	ds_store_b128 v28, v[24:27] offset:416
	ds_store_b128 v28, v[20:23] offset:832
	;; [unrolled: 1-line block ×6, first 2 shown]
.LBB0_17:
	s_or_b32 exec_lo, exec_lo, s1
	v_dual_mov_b32 v2, 0 :: v_dual_lshlrev_b32 v1, 2, v64
	s_waitcnt lgkmcnt(0)
	s_barrier
	buffer_gl0_inv
	s_mov_b32 s3, 0xbfee6f0e
	v_lshlrev_b64 v[3:4], 4, v[1:2]
	v_lshlrev_b32_e32 v1, 2, v56
	s_delay_alu instid0(VALU_DEP_1) | instskip(NEXT) | instid1(VALU_DEP_3)
	v_lshlrev_b64 v[0:1], 4, v[1:2]
	v_add_co_u32 v15, s0, s4, v3
	s_delay_alu instid0(VALU_DEP_1)
	v_add_co_ci_u32_e64 v16, s0, s5, v4, s0
	s_clause 0x2
	global_load_b128 v[3:6], v[15:16], off offset:2736
	global_load_b128 v[7:10], v[15:16], off offset:2720
	;; [unrolled: 1-line block ×3, first 2 shown]
	v_add_co_u32 v0, s0, s4, v0
	s_delay_alu instid0(VALU_DEP_1)
	v_add_co_ci_u32_e64 v1, s0, s5, v1, s0
	s_clause 0x4
	global_load_b128 v[15:18], v[15:16], off offset:2752
	global_load_b128 v[19:22], v[0:1], off offset:2704
	;; [unrolled: 1-line block ×5, first 2 shown]
	ds_load_b128 v[35:38], v65 offset:2912
	ds_load_b128 v[39:42], v65 offset:5824
	;; [unrolled: 1-line block ×8, first 2 shown]
	s_mov_b32 s0, 0x134454ff
	s_mov_b32 s1, 0x3fee6f0e
	;; [unrolled: 1-line block ×3, first 2 shown]
	s_waitcnt vmcnt(7) lgkmcnt(5)
	v_mul_f64 v[74:75], v[45:46], v[5:6]
	s_waitcnt vmcnt(6)
	v_mul_f64 v[72:73], v[41:42], v[9:10]
	s_waitcnt vmcnt(5)
	v_mul_f64 v[0:1], v[37:38], v[13:14]
	v_mul_f64 v[13:14], v[35:36], v[13:14]
	;; [unrolled: 1-line block ×4, first 2 shown]
	s_waitcnt vmcnt(4) lgkmcnt(4)
	v_mul_f64 v[76:77], v[49:50], v[17:18]
	v_mul_f64 v[17:18], v[47:48], v[17:18]
	s_waitcnt vmcnt(2) lgkmcnt(2)
	v_mul_f64 v[80:81], v[57:58], v[25:26]
	s_waitcnt vmcnt(1) lgkmcnt(1)
	v_mul_f64 v[82:83], v[61:62], v[29:30]
	v_mul_f64 v[25:26], v[55:56], v[25:26]
	;; [unrolled: 1-line block ×4, first 2 shown]
	s_waitcnt vmcnt(0) lgkmcnt(0)
	v_mul_f64 v[84:85], v[70:71], v[33:34]
	v_mul_f64 v[21:22], v[51:52], v[21:22]
	v_mul_f64 v[33:34], v[68:69], v[33:34]
	v_fma_f64 v[0:1], v[35:36], v[11:12], -v[0:1]
	v_fma_f64 v[35:36], v[39:40], v[7:8], -v[72:73]
	;; [unrolled: 1-line block ×3, first 2 shown]
	v_fma_f64 v[11:12], v[37:38], v[11:12], v[13:14]
	v_fma_f64 v[37:38], v[41:42], v[7:8], v[9:10]
	;; [unrolled: 1-line block ×3, first 2 shown]
	v_fma_f64 v[13:14], v[47:48], v[15:16], -v[76:77]
	v_fma_f64 v[15:16], v[49:50], v[15:16], v[17:18]
	v_fma_f64 v[43:44], v[55:56], v[23:24], -v[80:81]
	v_fma_f64 v[45:46], v[59:60], v[27:28], -v[82:83]
	v_fma_f64 v[23:24], v[57:58], v[23:24], v[25:26]
	v_fma_f64 v[27:28], v[61:62], v[27:28], v[29:30]
	v_fma_f64 v[17:18], v[51:52], v[19:20], -v[78:79]
	v_fma_f64 v[25:26], v[68:69], v[31:32], -v[84:85]
	v_fma_f64 v[19:20], v[53:54], v[19:20], v[21:22]
	v_fma_f64 v[21:22], v[70:71], v[31:32], v[33:34]
	ds_load_b128 v[3:6], v188
	ds_load_b128 v[7:10], v65 offset:1456
	s_waitcnt lgkmcnt(0)
	s_barrier
	buffer_gl0_inv
	v_add_f64 v[57:58], v[3:4], v[0:1]
	v_add_f64 v[29:30], v[35:36], v[39:40]
	;; [unrolled: 1-line block ×3, first 2 shown]
	v_add_f64 v[84:85], v[11:12], -v[37:38]
	v_add_f64 v[33:34], v[37:38], v[41:42]
	v_add_f64 v[31:32], v[0:1], v[13:14]
	;; [unrolled: 1-line block ×3, first 2 shown]
	v_add_f64 v[59:60], v[11:12], -v[15:16]
	v_add_f64 v[49:50], v[43:44], v[45:46]
	v_add_f64 v[74:75], v[0:1], -v[13:14]
	v_add_f64 v[53:54], v[23:24], v[27:28]
	v_add_f64 v[70:71], v[7:8], v[17:18]
	;; [unrolled: 1-line block ×5, first 2 shown]
	v_add_f64 v[61:62], v[37:38], -v[41:42]
	v_add_f64 v[76:77], v[19:20], -v[21:22]
	;; [unrolled: 1-line block ×16, first 2 shown]
	v_fma_f64 v[29:30], v[29:30], -0.5, v[3:4]
	v_add_f64 v[37:38], v[68:69], v[37:38]
	v_fma_f64 v[33:34], v[33:34], -0.5, v[5:6]
	v_fma_f64 v[3:4], v[31:32], -0.5, v[3:4]
	v_add_f64 v[31:32], v[35:36], -v[39:40]
	v_fma_f64 v[5:6], v[47:48], -0.5, v[5:6]
	v_fma_f64 v[49:50], v[49:50], -0.5, v[7:8]
	v_add_f64 v[47:48], v[23:24], -v[27:28]
	;; [unrolled: 3-line block ×3, first 2 shown]
	v_fma_f64 v[9:10], v[55:56], -0.5, v[9:10]
	v_add_f64 v[55:56], v[0:1], -v[35:36]
	v_add_f64 v[0:1], v[35:36], -v[0:1]
	v_add_f64 v[35:36], v[57:58], v[35:36]
	v_add_f64 v[43:44], v[70:71], v[43:44]
	;; [unrolled: 1-line block ×3, first 2 shown]
	v_fma_f64 v[57:58], v[59:60], s[0:1], v[29:30]
	v_fma_f64 v[29:30], v[59:60], s[2:3], v[29:30]
	;; [unrolled: 1-line block ×16, first 2 shown]
	s_mov_b32 s0, 0x4755a5e
	s_mov_b32 s1, 0x3fe2cf23
	;; [unrolled: 1-line block ×4, first 2 shown]
	v_add_f64 v[55:56], v[55:56], v[80:81]
	v_add_f64 v[0:1], v[0:1], v[82:83]
	;; [unrolled: 1-line block ×12, first 2 shown]
	v_fma_f64 v[27:28], v[61:62], s[0:1], v[57:58]
	v_fma_f64 v[29:30], v[61:62], s[2:3], v[29:30]
	;; [unrolled: 1-line block ×16, first 2 shown]
	s_mov_b32 s0, 0x372fe950
	s_mov_b32 s1, 0x3fd3c6ef
	s_mov_b32 s3, exec_lo
	v_add_f64 v[3:4], v[11:12], v[13:14]
	v_add_f64 v[5:6], v[17:18], v[15:16]
	;; [unrolled: 1-line block ×4, first 2 shown]
	v_fma_f64 v[11:12], v[55:56], s[0:1], v[27:28]
	v_fma_f64 v[15:16], v[55:56], s[0:1], v[29:30]
	;; [unrolled: 1-line block ×16, first 2 shown]
	v_lshl_add_u32 v0, v190, 4, v191
	s_add_u32 s1, s4, 0x3810
	s_addc_u32 s2, s5, 0
	ds_store_b128 v65, v[3:6]
	ds_store_b128 v65, v[7:10] offset:1456
	ds_store_b128 v65, v[11:14] offset:2912
	;; [unrolled: 1-line block ×9, first 2 shown]
	s_waitcnt lgkmcnt(0)
	s_barrier
	buffer_gl0_inv
	ds_load_b128 v[4:7], v188
	v_sub_nc_u32_e32 v14, v192, v189
                                        ; implicit-def: $vgpr0_vgpr1
                                        ; implicit-def: $vgpr8_vgpr9
                                        ; implicit-def: $vgpr10_vgpr11
                                        ; implicit-def: $vgpr12_vgpr13
	v_cmpx_ne_u32_e32 0, v64
	s_xor_b32 s3, exec_lo, s3
	s_cbranch_execz .LBB0_19
; %bb.18:
	v_mov_b32_e32 v65, v2
                                        ; implicit-def: $vgpr192
	s_delay_alu instid0(VALU_DEP_1) | instskip(NEXT) | instid1(VALU_DEP_1)
	v_lshlrev_b64 v[0:1], 4, v[64:65]
	v_add_co_u32 v0, s0, s1, v0
	s_delay_alu instid0(VALU_DEP_1)
	v_add_co_ci_u32_e64 v1, s0, s2, v1, s0
	global_load_b128 v[15:18], v[0:1], off
	ds_load_b128 v[0:3], v14 offset:14560
	s_waitcnt lgkmcnt(0)
	v_add_f64 v[8:9], v[4:5], -v[0:1]
	v_add_f64 v[10:11], v[6:7], v[2:3]
	v_add_f64 v[2:3], v[6:7], -v[2:3]
	v_add_f64 v[0:1], v[4:5], v[0:1]
	s_delay_alu instid0(VALU_DEP_4) | instskip(NEXT) | instid1(VALU_DEP_4)
	v_mul_f64 v[6:7], v[8:9], 0.5
	v_mul_f64 v[4:5], v[10:11], 0.5
	s_delay_alu instid0(VALU_DEP_4) | instskip(SKIP_1) | instid1(VALU_DEP_3)
	v_mul_f64 v[2:3], v[2:3], 0.5
	s_waitcnt vmcnt(0)
	v_mul_f64 v[8:9], v[6:7], v[17:18]
	s_delay_alu instid0(VALU_DEP_2) | instskip(SKIP_1) | instid1(VALU_DEP_3)
	v_fma_f64 v[10:11], v[4:5], v[17:18], v[2:3]
	v_fma_f64 v[2:3], v[4:5], v[17:18], -v[2:3]
	v_fma_f64 v[12:13], v[0:1], 0.5, v[8:9]
	v_fma_f64 v[0:1], v[0:1], 0.5, -v[8:9]
	s_delay_alu instid0(VALU_DEP_4) | instskip(NEXT) | instid1(VALU_DEP_4)
	v_fma_f64 v[10:11], -v[15:16], v[6:7], v[10:11]
	v_fma_f64 v[2:3], -v[15:16], v[6:7], v[2:3]
	s_delay_alu instid0(VALU_DEP_4) | instskip(NEXT) | instid1(VALU_DEP_4)
	v_fma_f64 v[8:9], v[4:5], v[15:16], v[12:13]
	v_fma_f64 v[0:1], -v[4:5], v[15:16], v[0:1]
	v_dual_mov_b32 v12, v64 :: v_dual_mov_b32 v13, v65
                                        ; implicit-def: $vgpr4_vgpr5
.LBB0_19:
	s_and_not1_saveexec_b32 s0, s3
	s_cbranch_execz .LBB0_21
; %bb.20:
	s_waitcnt lgkmcnt(0)
	v_add_f64 v[8:9], v[4:5], v[6:7]
	v_add_f64 v[0:1], v[4:5], -v[6:7]
	ds_load_b64 v[4:5], v192 offset:7288
	v_mov_b32_e32 v10, 0
	v_dual_mov_b32 v11, 0 :: v_dual_mov_b32 v12, 0
	s_delay_alu instid0(VALU_DEP_2) | instskip(NEXT) | instid1(VALU_DEP_2)
	v_dual_mov_b32 v13, 0 :: v_dual_mov_b32 v2, v10
	v_mov_b32_e32 v3, v11
	s_waitcnt lgkmcnt(0)
	v_xor_b32_e32 v5, 0x80000000, v5
	ds_store_b64 v192, v[4:5] offset:7288
.LBB0_21:
	s_or_b32 exec_lo, exec_lo, s0
	s_waitcnt lgkmcnt(0)
	v_lshlrev_b64 v[4:5], 4, v[12:13]
	s_delay_alu instid0(VALU_DEP_1) | instskip(NEXT) | instid1(VALU_DEP_1)
	v_add_co_u32 v12, s0, s1, v4
	v_add_co_ci_u32_e64 v13, s0, s2, v5, s0
	s_clause 0x1
	global_load_b128 v[15:18], v[12:13], off offset:1456
	global_load_b128 v[19:22], v[12:13], off offset:2912
	ds_store_2addr_b64 v188, v[8:9], v[10:11] offset1:1
	ds_store_b128 v14, v[0:3] offset:14560
	ds_load_b128 v[0:3], v188 offset:1456
	ds_load_b128 v[6:9], v14 offset:13104
	s_waitcnt lgkmcnt(0)
	v_add_f64 v[10:11], v[0:1], -v[6:7]
	v_add_f64 v[23:24], v[2:3], v[8:9]
	v_add_f64 v[2:3], v[2:3], -v[8:9]
	v_add_f64 v[0:1], v[0:1], v[6:7]
	s_delay_alu instid0(VALU_DEP_4) | instskip(NEXT) | instid1(VALU_DEP_4)
	v_mul_f64 v[8:9], v[10:11], 0.5
	v_mul_f64 v[10:11], v[23:24], 0.5
	s_delay_alu instid0(VALU_DEP_4) | instskip(SKIP_1) | instid1(VALU_DEP_3)
	v_mul_f64 v[2:3], v[2:3], 0.5
	s_waitcnt vmcnt(1)
	v_mul_f64 v[6:7], v[8:9], v[17:18]
	s_delay_alu instid0(VALU_DEP_2) | instskip(SKIP_1) | instid1(VALU_DEP_3)
	v_fma_f64 v[23:24], v[10:11], v[17:18], v[2:3]
	v_fma_f64 v[2:3], v[10:11], v[17:18], -v[2:3]
	v_fma_f64 v[17:18], v[0:1], 0.5, v[6:7]
	v_fma_f64 v[0:1], v[0:1], 0.5, -v[6:7]
	s_delay_alu instid0(VALU_DEP_4) | instskip(NEXT) | instid1(VALU_DEP_4)
	v_fma_f64 v[23:24], -v[15:16], v[8:9], v[23:24]
	v_fma_f64 v[2:3], -v[15:16], v[8:9], v[2:3]
	s_delay_alu instid0(VALU_DEP_4) | instskip(NEXT) | instid1(VALU_DEP_4)
	v_fma_f64 v[17:18], v[10:11], v[15:16], v[17:18]
	v_fma_f64 v[0:1], -v[10:11], v[15:16], v[0:1]
	v_add_co_u32 v15, s0, 0x1000, v12
	s_delay_alu instid0(VALU_DEP_1)
	v_add_co_ci_u32_e64 v16, s0, 0, v13, s0
	global_load_b128 v[6:9], v[15:16], off offset:272
	ds_store_2addr_b64 v188, v[17:18], v[23:24] offset0:182 offset1:183
	ds_store_b128 v14, v[0:3] offset:13104
	ds_load_b128 v[0:3], v188 offset:2912
	ds_load_b128 v[10:13], v14 offset:11648
	s_waitcnt lgkmcnt(0)
	v_add_f64 v[17:18], v[0:1], -v[10:11]
	v_add_f64 v[23:24], v[2:3], v[12:13]
	v_add_f64 v[2:3], v[2:3], -v[12:13]
	v_add_f64 v[0:1], v[0:1], v[10:11]
	s_delay_alu instid0(VALU_DEP_4) | instskip(NEXT) | instid1(VALU_DEP_4)
	v_mul_f64 v[12:13], v[17:18], 0.5
	v_mul_f64 v[17:18], v[23:24], 0.5
	s_delay_alu instid0(VALU_DEP_4) | instskip(SKIP_1) | instid1(VALU_DEP_3)
	v_mul_f64 v[2:3], v[2:3], 0.5
	s_waitcnt vmcnt(1)
	v_mul_f64 v[10:11], v[12:13], v[21:22]
	s_delay_alu instid0(VALU_DEP_2) | instskip(SKIP_1) | instid1(VALU_DEP_3)
	v_fma_f64 v[23:24], v[17:18], v[21:22], v[2:3]
	v_fma_f64 v[2:3], v[17:18], v[21:22], -v[2:3]
	v_fma_f64 v[21:22], v[0:1], 0.5, v[10:11]
	v_fma_f64 v[0:1], v[0:1], 0.5, -v[10:11]
	s_delay_alu instid0(VALU_DEP_4) | instskip(NEXT) | instid1(VALU_DEP_4)
	v_fma_f64 v[23:24], -v[19:20], v[12:13], v[23:24]
	v_fma_f64 v[2:3], -v[19:20], v[12:13], v[2:3]
	global_load_b128 v[10:13], v[15:16], off offset:1728
	v_add_nc_u32_e32 v15, 0x800, v188
	v_fma_f64 v[21:22], v[17:18], v[19:20], v[21:22]
	v_fma_f64 v[0:1], -v[17:18], v[19:20], v[0:1]
	ds_store_2addr_b64 v15, v[21:22], v[23:24] offset0:108 offset1:109
	ds_store_b128 v14, v[0:3] offset:11648
	ds_load_b128 v[0:3], v188 offset:4368
	ds_load_b128 v[15:18], v14 offset:10192
	s_waitcnt lgkmcnt(0)
	v_add_f64 v[19:20], v[0:1], -v[15:16]
	v_add_f64 v[21:22], v[2:3], v[17:18]
	v_add_f64 v[2:3], v[2:3], -v[17:18]
	v_add_f64 v[0:1], v[0:1], v[15:16]
	s_delay_alu instid0(VALU_DEP_4) | instskip(NEXT) | instid1(VALU_DEP_4)
	v_mul_f64 v[17:18], v[19:20], 0.5
	v_mul_f64 v[19:20], v[21:22], 0.5
	s_delay_alu instid0(VALU_DEP_4) | instskip(SKIP_1) | instid1(VALU_DEP_3)
	v_mul_f64 v[2:3], v[2:3], 0.5
	s_waitcnt vmcnt(1)
	v_mul_f64 v[15:16], v[17:18], v[8:9]
	s_delay_alu instid0(VALU_DEP_2) | instskip(SKIP_1) | instid1(VALU_DEP_3)
	v_fma_f64 v[21:22], v[19:20], v[8:9], v[2:3]
	v_fma_f64 v[2:3], v[19:20], v[8:9], -v[2:3]
	v_fma_f64 v[8:9], v[0:1], 0.5, v[15:16]
	v_fma_f64 v[0:1], v[0:1], 0.5, -v[15:16]
	s_delay_alu instid0(VALU_DEP_4) | instskip(NEXT) | instid1(VALU_DEP_4)
	v_fma_f64 v[15:16], -v[6:7], v[17:18], v[21:22]
	v_fma_f64 v[2:3], -v[6:7], v[17:18], v[2:3]
	s_delay_alu instid0(VALU_DEP_4) | instskip(NEXT) | instid1(VALU_DEP_4)
	v_fma_f64 v[8:9], v[19:20], v[6:7], v[8:9]
	v_fma_f64 v[0:1], -v[19:20], v[6:7], v[0:1]
	v_add_nc_u32_e32 v19, 0x1000, v188
	ds_store_2addr_b64 v19, v[8:9], v[15:16] offset0:34 offset1:35
	ds_store_b128 v14, v[0:3] offset:10192
	ds_load_b128 v[0:3], v188 offset:5824
	ds_load_b128 v[6:9], v14 offset:8736
	s_waitcnt lgkmcnt(0)
	v_add_f64 v[15:16], v[0:1], -v[6:7]
	v_add_f64 v[17:18], v[2:3], v[8:9]
	v_add_f64 v[2:3], v[2:3], -v[8:9]
	v_add_f64 v[0:1], v[0:1], v[6:7]
	s_delay_alu instid0(VALU_DEP_4) | instskip(NEXT) | instid1(VALU_DEP_4)
	v_mul_f64 v[8:9], v[15:16], 0.5
	v_mul_f64 v[15:16], v[17:18], 0.5
	s_delay_alu instid0(VALU_DEP_4) | instskip(SKIP_1) | instid1(VALU_DEP_3)
	v_mul_f64 v[2:3], v[2:3], 0.5
	s_waitcnt vmcnt(0)
	v_mul_f64 v[6:7], v[8:9], v[12:13]
	s_delay_alu instid0(VALU_DEP_2) | instskip(SKIP_1) | instid1(VALU_DEP_3)
	v_fma_f64 v[17:18], v[15:16], v[12:13], v[2:3]
	v_fma_f64 v[2:3], v[15:16], v[12:13], -v[2:3]
	v_fma_f64 v[12:13], v[0:1], 0.5, v[6:7]
	v_fma_f64 v[0:1], v[0:1], 0.5, -v[6:7]
	s_delay_alu instid0(VALU_DEP_4) | instskip(NEXT) | instid1(VALU_DEP_4)
	v_fma_f64 v[6:7], -v[10:11], v[8:9], v[17:18]
	v_fma_f64 v[2:3], -v[10:11], v[8:9], v[2:3]
	s_delay_alu instid0(VALU_DEP_4) | instskip(NEXT) | instid1(VALU_DEP_4)
	v_fma_f64 v[8:9], v[15:16], v[10:11], v[12:13]
	v_fma_f64 v[0:1], -v[15:16], v[10:11], v[0:1]
	ds_store_2addr_b64 v19, v[8:9], v[6:7] offset0:216 offset1:217
	ds_store_b128 v14, v[0:3] offset:8736
	s_waitcnt lgkmcnt(0)
	s_barrier
	buffer_gl0_inv
	s_and_saveexec_b32 s0, vcc_lo
	s_cbranch_execz .LBB0_24
; %bb.22:
	ds_load_b128 v[6:9], v188
	ds_load_b128 v[10:13], v188 offset:1456
	ds_load_b128 v[14:17], v188 offset:2912
	;; [unrolled: 1-line block ×5, first 2 shown]
	v_add_co_u32 v0, vcc_lo, s8, v66
	v_add_co_ci_u32_e32 v1, vcc_lo, s9, v67, vcc_lo
	s_delay_alu instid0(VALU_DEP_2) | instskip(NEXT) | instid1(VALU_DEP_2)
	v_add_co_u32 v42, vcc_lo, v0, v4
	v_add_co_ci_u32_e32 v43, vcc_lo, v1, v5, vcc_lo
	ds_load_b128 v[2:5], v188 offset:8736
	ds_load_b128 v[30:33], v188 offset:10192
	;; [unrolled: 1-line block ×4, first 2 shown]
	v_add_co_u32 v44, vcc_lo, 0x1000, v42
	v_add_co_ci_u32_e32 v45, vcc_lo, 0, v43, vcc_lo
	s_waitcnt lgkmcnt(9)
	global_store_b128 v[42:43], v[6:9], off
	s_waitcnt lgkmcnt(8)
	global_store_b128 v[42:43], v[10:13], off offset:1456
	s_waitcnt lgkmcnt(7)
	global_store_b128 v[42:43], v[14:17], off offset:2912
	s_waitcnt lgkmcnt(6)
	global_store_b128 v[44:45], v[18:21], off offset:272
	s_waitcnt lgkmcnt(5)
	global_store_b128 v[44:45], v[22:25], off offset:1728
	s_waitcnt lgkmcnt(4)
	global_store_b128 v[44:45], v[26:29], off offset:3184
	v_add_co_u32 v6, vcc_lo, 0x2000, v42
	v_add_co_ci_u32_e32 v7, vcc_lo, 0, v43, vcc_lo
	v_add_co_u32 v8, vcc_lo, 0x3000, v42
	v_add_co_ci_u32_e32 v9, vcc_lo, 0, v43, vcc_lo
	v_cmp_eq_u32_e32 vcc_lo, 0x5a, v64
	s_waitcnt lgkmcnt(3)
	global_store_b128 v[6:7], v[2:5], off offset:544
	s_waitcnt lgkmcnt(2)
	global_store_b128 v[6:7], v[30:33], off offset:2000
	s_waitcnt lgkmcnt(1)
	global_store_b128 v[6:7], v[34:37], off offset:3456
	s_waitcnt lgkmcnt(0)
	global_store_b128 v[8:9], v[38:41], off offset:816
	s_and_b32 exec_lo, exec_lo, vcc_lo
	s_cbranch_execz .LBB0_24
; %bb.23:
	ds_load_b128 v[2:5], v188 offset:13120
	v_add_co_u32 v0, vcc_lo, 0x3000, v0
	v_add_co_ci_u32_e32 v1, vcc_lo, 0, v1, vcc_lo
	s_waitcnt lgkmcnt(0)
	global_store_b128 v[0:1], v[2:5], off offset:2272
.LBB0_24:
	s_nop 0
	s_sendmsg sendmsg(MSG_DEALLOC_VGPRS)
	s_endpgm
	.section	.rodata,"a",@progbits
	.p2align	6, 0x0
	.amdhsa_kernel fft_rtc_fwd_len910_factors_13_2_7_5_wgs_182_tpt_91_dp_ip_CI_unitstride_sbrr_R2C_dirReg
		.amdhsa_group_segment_fixed_size 0
		.amdhsa_private_segment_fixed_size 0
		.amdhsa_kernarg_size 88
		.amdhsa_user_sgpr_count 15
		.amdhsa_user_sgpr_dispatch_ptr 0
		.amdhsa_user_sgpr_queue_ptr 0
		.amdhsa_user_sgpr_kernarg_segment_ptr 1
		.amdhsa_user_sgpr_dispatch_id 0
		.amdhsa_user_sgpr_private_segment_size 0
		.amdhsa_wavefront_size32 1
		.amdhsa_uses_dynamic_stack 0
		.amdhsa_enable_private_segment 0
		.amdhsa_system_sgpr_workgroup_id_x 1
		.amdhsa_system_sgpr_workgroup_id_y 0
		.amdhsa_system_sgpr_workgroup_id_z 0
		.amdhsa_system_sgpr_workgroup_info 0
		.amdhsa_system_vgpr_workitem_id 0
		.amdhsa_next_free_vgpr 242
		.amdhsa_next_free_sgpr 42
		.amdhsa_reserve_vcc 1
		.amdhsa_float_round_mode_32 0
		.amdhsa_float_round_mode_16_64 0
		.amdhsa_float_denorm_mode_32 3
		.amdhsa_float_denorm_mode_16_64 3
		.amdhsa_dx10_clamp 1
		.amdhsa_ieee_mode 1
		.amdhsa_fp16_overflow 0
		.amdhsa_workgroup_processor_mode 1
		.amdhsa_memory_ordered 1
		.amdhsa_forward_progress 0
		.amdhsa_shared_vgpr_count 0
		.amdhsa_exception_fp_ieee_invalid_op 0
		.amdhsa_exception_fp_denorm_src 0
		.amdhsa_exception_fp_ieee_div_zero 0
		.amdhsa_exception_fp_ieee_overflow 0
		.amdhsa_exception_fp_ieee_underflow 0
		.amdhsa_exception_fp_ieee_inexact 0
		.amdhsa_exception_int_div_zero 0
	.end_amdhsa_kernel
	.text
.Lfunc_end0:
	.size	fft_rtc_fwd_len910_factors_13_2_7_5_wgs_182_tpt_91_dp_ip_CI_unitstride_sbrr_R2C_dirReg, .Lfunc_end0-fft_rtc_fwd_len910_factors_13_2_7_5_wgs_182_tpt_91_dp_ip_CI_unitstride_sbrr_R2C_dirReg
                                        ; -- End function
	.section	.AMDGPU.csdata,"",@progbits
; Kernel info:
; codeLenInByte = 12424
; NumSgprs: 44
; NumVgprs: 242
; ScratchSize: 0
; MemoryBound: 0
; FloatMode: 240
; IeeeMode: 1
; LDSByteSize: 0 bytes/workgroup (compile time only)
; SGPRBlocks: 5
; VGPRBlocks: 30
; NumSGPRsForWavesPerEU: 44
; NumVGPRsForWavesPerEU: 242
; Occupancy: 5
; WaveLimiterHint : 1
; COMPUTE_PGM_RSRC2:SCRATCH_EN: 0
; COMPUTE_PGM_RSRC2:USER_SGPR: 15
; COMPUTE_PGM_RSRC2:TRAP_HANDLER: 0
; COMPUTE_PGM_RSRC2:TGID_X_EN: 1
; COMPUTE_PGM_RSRC2:TGID_Y_EN: 0
; COMPUTE_PGM_RSRC2:TGID_Z_EN: 0
; COMPUTE_PGM_RSRC2:TIDIG_COMP_CNT: 0
	.text
	.p2alignl 7, 3214868480
	.fill 96, 4, 3214868480
	.type	__hip_cuid_7eef3d33250c8231,@object ; @__hip_cuid_7eef3d33250c8231
	.section	.bss,"aw",@nobits
	.globl	__hip_cuid_7eef3d33250c8231
__hip_cuid_7eef3d33250c8231:
	.byte	0                               ; 0x0
	.size	__hip_cuid_7eef3d33250c8231, 1

	.ident	"AMD clang version 19.0.0git (https://github.com/RadeonOpenCompute/llvm-project roc-6.4.0 25133 c7fe45cf4b819c5991fe208aaa96edf142730f1d)"
	.section	".note.GNU-stack","",@progbits
	.addrsig
	.addrsig_sym __hip_cuid_7eef3d33250c8231
	.amdgpu_metadata
---
amdhsa.kernels:
  - .args:
      - .actual_access:  read_only
        .address_space:  global
        .offset:         0
        .size:           8
        .value_kind:     global_buffer
      - .offset:         8
        .size:           8
        .value_kind:     by_value
      - .actual_access:  read_only
        .address_space:  global
        .offset:         16
        .size:           8
        .value_kind:     global_buffer
      - .actual_access:  read_only
        .address_space:  global
        .offset:         24
        .size:           8
        .value_kind:     global_buffer
      - .offset:         32
        .size:           8
        .value_kind:     by_value
      - .actual_access:  read_only
        .address_space:  global
        .offset:         40
        .size:           8
        .value_kind:     global_buffer
      - .actual_access:  read_only
        .address_space:  global
        .offset:         48
        .size:           8
        .value_kind:     global_buffer
      - .offset:         56
        .size:           4
        .value_kind:     by_value
      - .actual_access:  read_only
        .address_space:  global
        .offset:         64
        .size:           8
        .value_kind:     global_buffer
      - .actual_access:  read_only
        .address_space:  global
        .offset:         72
        .size:           8
        .value_kind:     global_buffer
      - .address_space:  global
        .offset:         80
        .size:           8
        .value_kind:     global_buffer
    .group_segment_fixed_size: 0
    .kernarg_segment_align: 8
    .kernarg_segment_size: 88
    .language:       OpenCL C
    .language_version:
      - 2
      - 0
    .max_flat_workgroup_size: 182
    .name:           fft_rtc_fwd_len910_factors_13_2_7_5_wgs_182_tpt_91_dp_ip_CI_unitstride_sbrr_R2C_dirReg
    .private_segment_fixed_size: 0
    .sgpr_count:     44
    .sgpr_spill_count: 0
    .symbol:         fft_rtc_fwd_len910_factors_13_2_7_5_wgs_182_tpt_91_dp_ip_CI_unitstride_sbrr_R2C_dirReg.kd
    .uniform_work_group_size: 1
    .uses_dynamic_stack: false
    .vgpr_count:     242
    .vgpr_spill_count: 0
    .wavefront_size: 32
    .workgroup_processor_mode: 1
amdhsa.target:   amdgcn-amd-amdhsa--gfx1100
amdhsa.version:
  - 1
  - 2
...

	.end_amdgpu_metadata
